;; amdgpu-corpus repo=ROCm/rocFFT kind=compiled arch=gfx1201 opt=O3
	.text
	.amdgcn_target "amdgcn-amd-amdhsa--gfx1201"
	.amdhsa_code_object_version 6
	.protected	fft_rtc_fwd_len120_factors_6_10_2_wgs_60_tpt_12_halfLds_sp_ip_CI_unitstride_sbrr_C2R_dirReg ; -- Begin function fft_rtc_fwd_len120_factors_6_10_2_wgs_60_tpt_12_halfLds_sp_ip_CI_unitstride_sbrr_C2R_dirReg
	.globl	fft_rtc_fwd_len120_factors_6_10_2_wgs_60_tpt_12_halfLds_sp_ip_CI_unitstride_sbrr_C2R_dirReg
	.p2align	8
	.type	fft_rtc_fwd_len120_factors_6_10_2_wgs_60_tpt_12_halfLds_sp_ip_CI_unitstride_sbrr_C2R_dirReg,@function
fft_rtc_fwd_len120_factors_6_10_2_wgs_60_tpt_12_halfLds_sp_ip_CI_unitstride_sbrr_C2R_dirReg: ; @fft_rtc_fwd_len120_factors_6_10_2_wgs_60_tpt_12_halfLds_sp_ip_CI_unitstride_sbrr_C2R_dirReg
; %bb.0:
	s_load_b128 s[4:7], s[0:1], 0x0
	v_mul_u32_u24_e32 v1, 0x1556, v0
	s_clause 0x1
	s_load_b64 s[8:9], s[0:1], 0x50
	s_load_b64 s[10:11], s[0:1], 0x18
	v_mov_b32_e32 v5, 0
	v_lshrrev_b32_e32 v1, 16, v1
	s_delay_alu instid0(VALU_DEP_1) | instskip(SKIP_3) | instid1(VALU_DEP_1)
	v_mad_co_u64_u32 v[1:2], null, ttmp9, 5, v[1:2]
	v_mov_b32_e32 v3, 0
	v_mov_b32_e32 v4, 0
	;; [unrolled: 1-line block ×4, first 2 shown]
	s_wait_kmcnt 0x0
	v_cmp_lt_u64_e64 s2, s[6:7], 2
	v_mov_b32_e32 v9, v1
	s_delay_alu instid0(VALU_DEP_2)
	s_and_b32 vcc_lo, exec_lo, s2
	s_cbranch_vccnz .LBB0_8
; %bb.1:
	s_load_b64 s[2:3], s[0:1], 0x10
	v_dual_mov_b32 v3, 0 :: v_dual_mov_b32 v8, v2
	v_dual_mov_b32 v4, 0 :: v_dual_mov_b32 v7, v1
	s_add_nc_u64 s[12:13], s[10:11], 8
	s_mov_b64 s[14:15], 1
	s_wait_kmcnt 0x0
	s_add_nc_u64 s[16:17], s[2:3], 8
	s_mov_b32 s3, 0
.LBB0_2:                                ; =>This Inner Loop Header: Depth=1
	s_load_b64 s[18:19], s[16:17], 0x0
                                        ; implicit-def: $vgpr9_vgpr10
	s_mov_b32 s2, exec_lo
	s_wait_kmcnt 0x0
	v_or_b32_e32 v6, s19, v8
	s_delay_alu instid0(VALU_DEP_1)
	v_cmpx_ne_u64_e32 0, v[5:6]
	s_wait_alu 0xfffe
	s_xor_b32 s20, exec_lo, s2
	s_cbranch_execz .LBB0_4
; %bb.3:                                ;   in Loop: Header=BB0_2 Depth=1
	s_cvt_f32_u32 s2, s18
	s_cvt_f32_u32 s21, s19
	s_sub_nc_u64 s[24:25], 0, s[18:19]
	s_wait_alu 0xfffe
	s_delay_alu instid0(SALU_CYCLE_1) | instskip(SKIP_1) | instid1(SALU_CYCLE_2)
	s_fmamk_f32 s2, s21, 0x4f800000, s2
	s_wait_alu 0xfffe
	v_s_rcp_f32 s2, s2
	s_delay_alu instid0(TRANS32_DEP_1) | instskip(SKIP_1) | instid1(SALU_CYCLE_2)
	s_mul_f32 s2, s2, 0x5f7ffffc
	s_wait_alu 0xfffe
	s_mul_f32 s21, s2, 0x2f800000
	s_wait_alu 0xfffe
	s_delay_alu instid0(SALU_CYCLE_2) | instskip(SKIP_1) | instid1(SALU_CYCLE_2)
	s_trunc_f32 s21, s21
	s_wait_alu 0xfffe
	s_fmamk_f32 s2, s21, 0xcf800000, s2
	s_cvt_u32_f32 s23, s21
	s_wait_alu 0xfffe
	s_delay_alu instid0(SALU_CYCLE_1) | instskip(SKIP_1) | instid1(SALU_CYCLE_2)
	s_cvt_u32_f32 s22, s2
	s_wait_alu 0xfffe
	s_mul_u64 s[26:27], s[24:25], s[22:23]
	s_wait_alu 0xfffe
	s_mul_hi_u32 s29, s22, s27
	s_mul_i32 s28, s22, s27
	s_mul_hi_u32 s2, s22, s26
	s_mul_i32 s30, s23, s26
	s_wait_alu 0xfffe
	s_add_nc_u64 s[28:29], s[2:3], s[28:29]
	s_mul_hi_u32 s21, s23, s26
	s_mul_hi_u32 s31, s23, s27
	s_add_co_u32 s2, s28, s30
	s_wait_alu 0xfffe
	s_add_co_ci_u32 s2, s29, s21
	s_mul_i32 s26, s23, s27
	s_add_co_ci_u32 s27, s31, 0
	s_wait_alu 0xfffe
	s_add_nc_u64 s[26:27], s[2:3], s[26:27]
	s_wait_alu 0xfffe
	v_add_co_u32 v2, s2, s22, s26
	s_delay_alu instid0(VALU_DEP_1) | instskip(SKIP_1) | instid1(VALU_DEP_1)
	s_cmp_lg_u32 s2, 0
	s_add_co_ci_u32 s23, s23, s27
	v_readfirstlane_b32 s22, v2
	s_wait_alu 0xfffe
	s_delay_alu instid0(VALU_DEP_1)
	s_mul_u64 s[24:25], s[24:25], s[22:23]
	s_wait_alu 0xfffe
	s_mul_hi_u32 s27, s22, s25
	s_mul_i32 s26, s22, s25
	s_mul_hi_u32 s2, s22, s24
	s_mul_i32 s28, s23, s24
	s_wait_alu 0xfffe
	s_add_nc_u64 s[26:27], s[2:3], s[26:27]
	s_mul_hi_u32 s21, s23, s24
	s_mul_hi_u32 s22, s23, s25
	s_wait_alu 0xfffe
	s_add_co_u32 s2, s26, s28
	s_add_co_ci_u32 s2, s27, s21
	s_mul_i32 s24, s23, s25
	s_add_co_ci_u32 s25, s22, 0
	s_wait_alu 0xfffe
	s_add_nc_u64 s[24:25], s[2:3], s[24:25]
	s_wait_alu 0xfffe
	v_add_co_u32 v2, s2, v2, s24
	s_delay_alu instid0(VALU_DEP_1) | instskip(SKIP_1) | instid1(VALU_DEP_1)
	s_cmp_lg_u32 s2, 0
	s_add_co_ci_u32 s2, s23, s25
	v_mul_hi_u32 v6, v7, v2
	s_wait_alu 0xfffe
	v_mad_co_u64_u32 v[9:10], null, v7, s2, 0
	v_mad_co_u64_u32 v[11:12], null, v8, v2, 0
	;; [unrolled: 1-line block ×3, first 2 shown]
	s_delay_alu instid0(VALU_DEP_3) | instskip(SKIP_1) | instid1(VALU_DEP_4)
	v_add_co_u32 v2, vcc_lo, v6, v9
	s_wait_alu 0xfffd
	v_add_co_ci_u32_e32 v6, vcc_lo, 0, v10, vcc_lo
	s_delay_alu instid0(VALU_DEP_2) | instskip(SKIP_1) | instid1(VALU_DEP_2)
	v_add_co_u32 v2, vcc_lo, v2, v11
	s_wait_alu 0xfffd
	v_add_co_ci_u32_e32 v2, vcc_lo, v6, v12, vcc_lo
	s_wait_alu 0xfffd
	v_add_co_ci_u32_e32 v6, vcc_lo, 0, v14, vcc_lo
	s_delay_alu instid0(VALU_DEP_2) | instskip(SKIP_1) | instid1(VALU_DEP_2)
	v_add_co_u32 v2, vcc_lo, v2, v13
	s_wait_alu 0xfffd
	v_add_co_ci_u32_e32 v6, vcc_lo, 0, v6, vcc_lo
	s_delay_alu instid0(VALU_DEP_2) | instskip(SKIP_1) | instid1(VALU_DEP_3)
	v_mul_lo_u32 v11, s19, v2
	v_mad_co_u64_u32 v[9:10], null, s18, v2, 0
	v_mul_lo_u32 v12, s18, v6
	s_delay_alu instid0(VALU_DEP_2) | instskip(NEXT) | instid1(VALU_DEP_2)
	v_sub_co_u32 v9, vcc_lo, v7, v9
	v_add3_u32 v10, v10, v12, v11
	s_delay_alu instid0(VALU_DEP_1) | instskip(SKIP_1) | instid1(VALU_DEP_1)
	v_sub_nc_u32_e32 v11, v8, v10
	s_wait_alu 0xfffd
	v_subrev_co_ci_u32_e64 v11, s2, s19, v11, vcc_lo
	v_add_co_u32 v12, s2, v2, 2
	s_wait_alu 0xf1ff
	v_add_co_ci_u32_e64 v13, s2, 0, v6, s2
	v_sub_co_u32 v14, s2, v9, s18
	v_sub_co_ci_u32_e32 v10, vcc_lo, v8, v10, vcc_lo
	s_wait_alu 0xf1ff
	v_subrev_co_ci_u32_e64 v11, s2, 0, v11, s2
	s_delay_alu instid0(VALU_DEP_3) | instskip(NEXT) | instid1(VALU_DEP_3)
	v_cmp_le_u32_e32 vcc_lo, s18, v14
	v_cmp_eq_u32_e64 s2, s19, v10
	s_wait_alu 0xfffd
	v_cndmask_b32_e64 v14, 0, -1, vcc_lo
	v_cmp_le_u32_e32 vcc_lo, s19, v11
	s_wait_alu 0xfffd
	v_cndmask_b32_e64 v15, 0, -1, vcc_lo
	v_cmp_le_u32_e32 vcc_lo, s18, v9
	;; [unrolled: 3-line block ×3, first 2 shown]
	s_wait_alu 0xfffd
	v_cndmask_b32_e64 v16, 0, -1, vcc_lo
	v_cmp_eq_u32_e32 vcc_lo, s19, v11
	s_wait_alu 0xf1ff
	s_delay_alu instid0(VALU_DEP_2)
	v_cndmask_b32_e64 v9, v16, v9, s2
	s_wait_alu 0xfffd
	v_cndmask_b32_e32 v11, v15, v14, vcc_lo
	v_add_co_u32 v14, vcc_lo, v2, 1
	s_wait_alu 0xfffd
	v_add_co_ci_u32_e32 v15, vcc_lo, 0, v6, vcc_lo
	s_delay_alu instid0(VALU_DEP_3) | instskip(SKIP_1) | instid1(VALU_DEP_2)
	v_cmp_ne_u32_e32 vcc_lo, 0, v11
	s_wait_alu 0xfffd
	v_dual_cndmask_b32 v10, v15, v13 :: v_dual_cndmask_b32 v11, v14, v12
	v_cmp_ne_u32_e32 vcc_lo, 0, v9
	s_wait_alu 0xfffd
	s_delay_alu instid0(VALU_DEP_2) | instskip(NEXT) | instid1(VALU_DEP_3)
	v_cndmask_b32_e32 v10, v6, v10, vcc_lo
	v_cndmask_b32_e32 v9, v2, v11, vcc_lo
.LBB0_4:                                ;   in Loop: Header=BB0_2 Depth=1
	s_wait_alu 0xfffe
	s_and_not1_saveexec_b32 s2, s20
	s_cbranch_execz .LBB0_6
; %bb.5:                                ;   in Loop: Header=BB0_2 Depth=1
	v_cvt_f32_u32_e32 v2, s18
	s_sub_co_i32 s20, 0, s18
	s_delay_alu instid0(VALU_DEP_1) | instskip(NEXT) | instid1(TRANS32_DEP_1)
	v_rcp_iflag_f32_e32 v2, v2
	v_mul_f32_e32 v2, 0x4f7ffffe, v2
	s_delay_alu instid0(VALU_DEP_1) | instskip(SKIP_1) | instid1(VALU_DEP_1)
	v_cvt_u32_f32_e32 v2, v2
	s_wait_alu 0xfffe
	v_mul_lo_u32 v6, s20, v2
	s_delay_alu instid0(VALU_DEP_1) | instskip(NEXT) | instid1(VALU_DEP_1)
	v_mul_hi_u32 v6, v2, v6
	v_add_nc_u32_e32 v2, v2, v6
	s_delay_alu instid0(VALU_DEP_1) | instskip(NEXT) | instid1(VALU_DEP_1)
	v_mul_hi_u32 v2, v7, v2
	v_mul_lo_u32 v6, v2, s18
	v_add_nc_u32_e32 v9, 1, v2
	s_delay_alu instid0(VALU_DEP_2) | instskip(NEXT) | instid1(VALU_DEP_1)
	v_sub_nc_u32_e32 v6, v7, v6
	v_subrev_nc_u32_e32 v10, s18, v6
	v_cmp_le_u32_e32 vcc_lo, s18, v6
	s_wait_alu 0xfffd
	s_delay_alu instid0(VALU_DEP_2) | instskip(SKIP_2) | instid1(VALU_DEP_3)
	v_cndmask_b32_e32 v6, v6, v10, vcc_lo
	v_mov_b32_e32 v10, v5
	v_cndmask_b32_e32 v2, v2, v9, vcc_lo
	v_cmp_le_u32_e32 vcc_lo, s18, v6
	s_delay_alu instid0(VALU_DEP_2) | instskip(SKIP_1) | instid1(VALU_DEP_1)
	v_add_nc_u32_e32 v9, 1, v2
	s_wait_alu 0xfffd
	v_cndmask_b32_e32 v9, v2, v9, vcc_lo
.LBB0_6:                                ;   in Loop: Header=BB0_2 Depth=1
	s_wait_alu 0xfffe
	s_or_b32 exec_lo, exec_lo, s2
	s_load_b64 s[20:21], s[12:13], 0x0
	v_mul_lo_u32 v2, v10, s18
	v_mul_lo_u32 v6, v9, s19
	v_mad_co_u64_u32 v[11:12], null, v9, s18, 0
	s_add_nc_u64 s[14:15], s[14:15], 1
	s_add_nc_u64 s[12:13], s[12:13], 8
	s_wait_alu 0xfffe
	v_cmp_ge_u64_e64 s2, s[14:15], s[6:7]
	s_add_nc_u64 s[16:17], s[16:17], 8
	s_delay_alu instid0(VALU_DEP_2) | instskip(NEXT) | instid1(VALU_DEP_3)
	v_add3_u32 v2, v12, v6, v2
	v_sub_co_u32 v6, vcc_lo, v7, v11
	s_wait_alu 0xfffd
	s_delay_alu instid0(VALU_DEP_2) | instskip(SKIP_3) | instid1(VALU_DEP_2)
	v_sub_co_ci_u32_e32 v2, vcc_lo, v8, v2, vcc_lo
	s_and_b32 vcc_lo, exec_lo, s2
	s_wait_kmcnt 0x0
	v_mul_lo_u32 v7, s21, v6
	v_mul_lo_u32 v2, s20, v2
	v_mad_co_u64_u32 v[3:4], null, s20, v6, v[3:4]
	s_delay_alu instid0(VALU_DEP_1)
	v_add3_u32 v4, v7, v4, v2
	s_wait_alu 0xfffe
	s_cbranch_vccnz .LBB0_8
; %bb.7:                                ;   in Loop: Header=BB0_2 Depth=1
	v_dual_mov_b32 v7, v9 :: v_dual_mov_b32 v8, v10
	s_branch .LBB0_2
.LBB0_8:
	s_lshl_b64 s[2:3], s[6:7], 3
	v_mul_hi_u32 v2, 0xcccccccd, v1
	s_wait_alu 0xfffe
	s_add_nc_u64 s[2:3], s[10:11], s[2:3]
	s_load_b64 s[0:1], s[0:1], 0x20
	s_load_b64 s[2:3], s[2:3], 0x0
	v_mul_hi_u32 v5, 0x15555556, v0
	s_delay_alu instid0(VALU_DEP_2) | instskip(NEXT) | instid1(VALU_DEP_1)
	v_lshrrev_b32_e32 v2, 2, v2
	v_lshl_add_u32 v6, v2, 2, v2
	s_delay_alu instid0(VALU_DEP_1)
	v_sub_nc_u32_e32 v1, v1, v6
	s_wait_kmcnt 0x0
	v_cmp_gt_u64_e32 vcc_lo, s[0:1], v[9:10]
	v_mul_lo_u32 v7, s2, v10
	v_mul_lo_u32 v8, s3, v9
	v_mad_co_u64_u32 v[2:3], null, s2, v9, v[3:4]
	v_mul_u32_u24_e32 v4, 12, v5
	v_mul_u32_u24_e32 v34, 0x79, v1
	v_mov_b32_e32 v1, 0
	s_delay_alu instid0(VALU_DEP_3) | instskip(NEXT) | instid1(VALU_DEP_3)
	v_sub_nc_u32_e32 v0, v0, v4
	v_lshlrev_b32_e32 v32, 3, v34
	v_add3_u32 v3, v8, v3, v7
	s_delay_alu instid0(VALU_DEP_3) | instskip(NEXT) | instid1(VALU_DEP_2)
	v_mov_b32_e32 v20, v0
	v_lshlrev_b64_e32 v[22:23], 3, v[2:3]
	s_and_saveexec_b32 s1, vcc_lo
	s_cbranch_execz .LBB0_12
; %bb.9:
	v_lshlrev_b64_e32 v[4:5], 3, v[0:1]
	s_delay_alu instid0(VALU_DEP_2) | instskip(SKIP_3) | instid1(VALU_DEP_2)
	v_add_co_u32 v2, s0, s8, v22
	s_wait_alu 0xf1ff
	v_add_co_ci_u32_e64 v3, s0, s9, v23, s0
	s_mov_b32 s2, exec_lo
	v_add_co_u32 v4, s0, v2, v4
	s_wait_alu 0xf1ff
	s_delay_alu instid0(VALU_DEP_2)
	v_add_co_ci_u32_e64 v5, s0, v3, v5, s0
	s_clause 0x9
	global_load_b64 v[7:8], v[4:5], off
	global_load_b64 v[9:10], v[4:5], off offset:96
	global_load_b64 v[11:12], v[4:5], off offset:192
	;; [unrolled: 1-line block ×9, first 2 shown]
	v_lshlrev_b32_e32 v4, 3, v0
	s_delay_alu instid0(VALU_DEP_1)
	v_add3_u32 v6, 0, v32, v4
	v_dual_mov_b32 v5, v1 :: v_dual_mov_b32 v4, v0
	s_wait_loadcnt 0x8
	ds_store_2addr_b64 v6, v[7:8], v[9:10] offset1:12
	s_wait_loadcnt 0x6
	ds_store_2addr_b64 v6, v[11:12], v[13:14] offset0:24 offset1:36
	s_wait_loadcnt 0x4
	ds_store_2addr_b64 v6, v[15:16], v[17:18] offset0:48 offset1:60
	;; [unrolled: 2-line block ×4, first 2 shown]
	v_cmpx_eq_u32_e32 11, v0
	s_cbranch_execz .LBB0_11
; %bb.10:
	global_load_b64 v[1:2], v[2:3], off offset:960
	v_mov_b32_e32 v4, 11
	v_dual_mov_b32 v5, 0 :: v_dual_mov_b32 v0, 11
	s_wait_loadcnt 0x0
	ds_store_b64 v6, v[1:2] offset:872
.LBB0_11:
	s_wait_alu 0xfffe
	s_or_b32 exec_lo, exec_lo, s2
	v_mov_b32_e32 v20, v0
	v_dual_mov_b32 v0, v4 :: v_dual_mov_b32 v1, v5
.LBB0_12:
	s_wait_alu 0xfffe
	s_or_b32 exec_lo, exec_lo, s1
	v_lshl_add_u32 v30, v34, 3, 0
	v_lshlrev_b32_e32 v2, 3, v20
	global_wb scope:SCOPE_SE
	s_wait_dscnt 0x0
	s_barrier_signal -1
	s_barrier_wait -1
	global_inv scope:SCOPE_SE
	v_add_nc_u32_e32 v31, v30, v2
	v_sub_nc_u32_e32 v2, v30, v2
	v_lshlrev_b64_e32 v[24:25], 3, v[0:1]
	s_mov_b32 s1, exec_lo
	ds_load_b32 v3, v31
	ds_load_b32 v4, v2 offset:960
	s_wait_dscnt 0x0
	v_dual_add_f32 v0, v4, v3 :: v_dual_sub_f32 v1, v3, v4
	v_cmpx_ne_u32_e32 0, v20
	s_wait_alu 0xfffe
	s_xor_b32 s1, exec_lo, s1
	s_cbranch_execz .LBB0_14
; %bb.13:
	v_add_co_u32 v0, s0, s4, v24
	s_wait_alu 0xf1ff
	v_add_co_ci_u32_e64 v1, s0, s5, v25, s0
	v_dual_add_f32 v7, v4, v3 :: v_dual_sub_f32 v8, v3, v4
	global_load_b64 v[5:6], v[0:1], off offset:912
	ds_load_b32 v0, v2 offset:964
	ds_load_b32 v1, v31 offset:4
	s_wait_dscnt 0x0
	v_dual_add_f32 v9, v0, v1 :: v_dual_sub_f32 v0, v1, v0
	s_wait_loadcnt 0x0
	v_fma_f32 v3, -v8, v6, v7
	s_delay_alu instid0(VALU_DEP_2) | instskip(SKIP_2) | instid1(VALU_DEP_4)
	v_fma_f32 v4, v9, v6, -v0
	v_fma_f32 v10, v8, v6, v7
	v_fma_f32 v1, v9, v6, v0
	v_fmac_f32_e32 v3, v5, v9
	s_delay_alu instid0(VALU_DEP_4) | instskip(NEXT) | instid1(VALU_DEP_4)
	v_fmac_f32_e32 v4, v8, v5
	v_fma_f32 v0, -v5, v9, v10
	s_delay_alu instid0(VALU_DEP_4)
	v_fmac_f32_e32 v1, v8, v5
	ds_store_b64 v2, v[3:4] offset:960
.LBB0_14:
	s_wait_alu 0xfffe
	s_and_not1_saveexec_b32 s0, s1
	s_cbranch_execz .LBB0_16
; %bb.15:
	ds_load_b64 v[3:4], v30 offset:480
	s_wait_dscnt 0x0
	v_dual_add_f32 v3, v3, v3 :: v_dual_mul_f32 v4, -2.0, v4
	ds_store_b64 v30, v[3:4] offset:480
.LBB0_16:
	s_wait_alu 0xfffe
	s_or_b32 exec_lo, exec_lo, s0
	v_mov_b32_e32 v21, 0
	s_add_nc_u64 s[0:1], s[4:5], 0x390
	v_lshl_add_u32 v28, v20, 3, 0
	s_delay_alu instid0(VALU_DEP_2) | instskip(NEXT) | instid1(VALU_DEP_2)
	v_lshlrev_b64_e32 v[26:27], 3, v[20:21]
	v_mad_u32_u24 v35, v20, 40, v28
	v_add_nc_u32_e32 v33, v28, v32
	s_wait_alu 0xfffe
	s_delay_alu instid0(VALU_DEP_3)
	v_add_co_u32 v3, s0, s0, v26
	s_wait_alu 0xf1ff
	v_add_co_ci_u32_e64 v4, s0, s1, v27, s0
	v_cmp_gt_u32_e64 s0, 8, v20
	s_clause 0x3
	global_load_b64 v[5:6], v[3:4], off offset:96
	global_load_b64 v[7:8], v[3:4], off offset:192
	;; [unrolled: 1-line block ×4, first 2 shown]
	ds_store_b64 v31, v[0:1]
	ds_load_b64 v[0:1], v31 offset:96
	ds_load_b64 v[11:12], v2 offset:864
	s_wait_dscnt 0x0
	v_dual_add_f32 v13, v0, v11 :: v_dual_add_nc_u32 v38, v35, v32
	v_add_f32_e32 v14, v12, v1
	v_dual_sub_f32 v15, v0, v11 :: v_dual_sub_f32 v0, v1, v12
	s_wait_loadcnt 0x3
	s_delay_alu instid0(VALU_DEP_1) | instskip(NEXT) | instid1(VALU_DEP_2)
	v_fma_f32 v16, v15, v6, v13
	v_fma_f32 v1, v14, v6, v0
	v_fma_f32 v11, -v15, v6, v13
	v_fma_f32 v12, v14, v6, -v0
	s_delay_alu instid0(VALU_DEP_4) | instskip(NEXT) | instid1(VALU_DEP_4)
	v_fma_f32 v0, -v5, v14, v16
	v_fmac_f32_e32 v1, v15, v5
	s_delay_alu instid0(VALU_DEP_3)
	v_dual_fmac_f32 v11, v5, v14 :: v_dual_fmac_f32 v12, v15, v5
	ds_store_b64 v31, v[0:1] offset:96
	ds_store_b64 v2, v[11:12] offset:864
	ds_load_b64 v[0:1], v31 offset:192
	ds_load_b64 v[5:6], v2 offset:768
	s_wait_dscnt 0x0
	v_add_f32_e32 v11, v0, v5
	v_add_f32_e32 v12, v6, v1
	v_dual_sub_f32 v13, v0, v5 :: v_dual_sub_f32 v0, v1, v6
	s_wait_loadcnt 0x2
	s_delay_alu instid0(VALU_DEP_1) | instskip(NEXT) | instid1(VALU_DEP_2)
	v_fma_f32 v14, v13, v8, v11
	v_fma_f32 v1, v12, v8, v0
	v_fma_f32 v5, -v13, v8, v11
	v_fma_f32 v6, v12, v8, -v0
	s_delay_alu instid0(VALU_DEP_4) | instskip(NEXT) | instid1(VALU_DEP_4)
	v_fma_f32 v0, -v7, v12, v14
	v_fmac_f32_e32 v1, v13, v7
	s_delay_alu instid0(VALU_DEP_3)
	v_dual_fmac_f32 v5, v7, v12 :: v_dual_fmac_f32 v6, v13, v7
	ds_store_b64 v31, v[0:1] offset:192
	ds_store_b64 v2, v[5:6] offset:768
	ds_load_b64 v[0:1], v31 offset:288
	ds_load_b64 v[5:6], v2 offset:672
	s_wait_dscnt 0x0
	v_add_f32_e32 v8, v6, v1
	v_add_f32_e32 v7, v0, v5
	v_dual_sub_f32 v11, v0, v5 :: v_dual_sub_f32 v0, v1, v6
	s_wait_loadcnt 0x1
	s_delay_alu instid0(VALU_DEP_1) | instskip(NEXT) | instid1(VALU_DEP_2)
	v_fma_f32 v12, v11, v10, v7
	v_fma_f32 v1, v8, v10, v0
	v_fma_f32 v5, -v11, v10, v7
	v_fma_f32 v6, v8, v10, -v0
	s_delay_alu instid0(VALU_DEP_4) | instskip(NEXT) | instid1(VALU_DEP_4)
	v_fma_f32 v0, -v9, v8, v12
	v_fmac_f32_e32 v1, v11, v9
	s_delay_alu instid0(VALU_DEP_3)
	v_dual_fmac_f32 v5, v9, v8 :: v_dual_fmac_f32 v6, v11, v9
	ds_store_b64 v31, v[0:1] offset:288
	ds_store_b64 v2, v[5:6] offset:672
	ds_load_b64 v[0:1], v31 offset:384
	ds_load_b64 v[5:6], v2 offset:576
	s_wait_dscnt 0x0
	v_add_f32_e32 v8, v6, v1
	v_add_f32_e32 v7, v0, v5
	v_dual_sub_f32 v9, v0, v5 :: v_dual_sub_f32 v0, v1, v6
	s_wait_loadcnt 0x0
	s_delay_alu instid0(VALU_DEP_1) | instskip(NEXT) | instid1(VALU_DEP_2)
	v_fma_f32 v10, v9, v4, v7
	v_fma_f32 v1, v8, v4, v0
	v_fma_f32 v5, -v9, v4, v7
	v_fma_f32 v6, v8, v4, -v0
	s_delay_alu instid0(VALU_DEP_4) | instskip(NEXT) | instid1(VALU_DEP_4)
	v_fma_f32 v0, -v3, v8, v10
	v_fmac_f32_e32 v1, v9, v3
	s_delay_alu instid0(VALU_DEP_3)
	v_dual_fmac_f32 v5, v3, v8 :: v_dual_fmac_f32 v6, v9, v3
	ds_store_b64 v31, v[0:1] offset:384
	ds_store_b64 v2, v[5:6] offset:576
	global_wb scope:SCOPE_SE
	s_wait_dscnt 0x0
	s_barrier_signal -1
	s_barrier_wait -1
	global_inv scope:SCOPE_SE
	global_wb scope:SCOPE_SE
	s_barrier_signal -1
	s_barrier_wait -1
	global_inv scope:SCOPE_SE
	ds_load_2addr_b64 v[0:3], v33 offset0:32 offset1:40
	ds_load_b64 v[36:37], v31
	ds_load_2addr_b64 v[4:7], v33 offset0:72 offset1:80
	ds_load_2addr_b64 v[12:15], v33 offset0:12 offset1:20
	;; [unrolled: 1-line block ×4, first 2 shown]
	s_wait_dscnt 0x4
	v_add_f32_e32 v42, v37, v3
	s_wait_dscnt 0x3
	v_dual_add_f32 v40, v2, v6 :: v_dual_sub_f32 v41, v3, v7
	s_wait_dscnt 0x1
	v_add_f32_e32 v46, v15, v19
	s_wait_dscnt 0x0
	v_dual_add_f32 v44, v18, v10 :: v_dual_sub_f32 v45, v19, v11
	v_add_f32_e32 v19, v19, v11
	v_add_f32_e32 v43, v14, v18
	v_sub_f32_e32 v18, v18, v10
	v_add_f32_e32 v39, v36, v2
	v_fma_f32 v36, -0.5, v40, v36
	v_fma_f32 v14, -0.5, v44, v14
	;; [unrolled: 1-line block ×3, first 2 shown]
	v_add_f32_e32 v3, v3, v7
	ds_load_b64 v[28:29], v33 offset:896
	v_fmamk_f32 v19, v41, 0x3f5db3d7, v36
	v_fmac_f32_e32 v36, 0xbf5db3d7, v41
	v_fmamk_f32 v40, v45, 0x3f5db3d7, v14
	v_dual_fmac_f32 v14, 0xbf5db3d7, v45 :: v_dual_fmamk_f32 v41, v18, 0xbf5db3d7, v15
	v_fmac_f32_e32 v15, 0x3f5db3d7, v18
	v_dual_sub_f32 v2, v2, v6 :: v_dual_fmac_f32 v37, -0.5, v3
	v_add_f32_e32 v10, v43, v10
	v_dual_add_f32 v6, v39, v6 :: v_dual_add_f32 v7, v42, v7
	s_delay_alu instid0(VALU_DEP_4)
	v_mul_f32_e32 v44, -0.5, v15
	v_dual_add_f32 v11, v46, v11 :: v_dual_mul_f32 v42, -0.5, v14
	global_wb scope:SCOPE_SE
	s_wait_dscnt 0x0
	s_barrier_signal -1
	v_fmac_f32_e32 v44, 0xbf5db3d7, v14
	v_mul_f32_e32 v18, 0x3f5db3d7, v41
	v_fmamk_f32 v39, v2, 0xbf5db3d7, v37
	v_dual_fmac_f32 v37, 0x3f5db3d7, v2 :: v_dual_fmac_f32 v42, 0x3f5db3d7, v15
	v_add_f32_e32 v2, v6, v10
	s_delay_alu instid0(VALU_DEP_4) | instskip(SKIP_3) | instid1(VALU_DEP_3)
	v_fmac_f32_e32 v18, 0.5, v40
	v_mul_f32_e32 v43, 0xbf5db3d7, v40
	v_dual_add_f32 v3, v7, v11 :: v_dual_sub_f32 v6, v6, v10
	v_sub_f32_e32 v7, v7, v11
	v_dual_add_f32 v10, v19, v18 :: v_dual_fmac_f32 v43, 0.5, v41
	v_dual_add_f32 v14, v36, v42 :: v_dual_add_f32 v15, v37, v44
	v_sub_f32_e32 v18, v19, v18
	s_delay_alu instid0(VALU_DEP_3)
	v_dual_sub_f32 v36, v36, v42 :: v_dual_add_f32 v11, v39, v43
	v_sub_f32_e32 v19, v39, v43
	v_sub_f32_e32 v37, v37, v44
	s_barrier_wait -1
	global_inv scope:SCOPE_SE
	ds_store_2addr_b64 v38, v[2:3], v[10:11] offset1:1
	ds_store_2addr_b64 v38, v[14:15], v[6:7] offset0:2 offset1:3
	ds_store_2addr_b64 v38, v[18:19], v[36:37] offset0:4 offset1:5
	s_and_saveexec_b32 s1, s0
	s_cbranch_execz .LBB0_18
; %bb.17:
	v_dual_add_f32 v2, v4, v28 :: v_dual_add_f32 v3, v5, v29
	v_dual_sub_f32 v6, v5, v29 :: v_dual_sub_f32 v7, v4, v28
	v_add_f32_e32 v18, v16, v8
	s_delay_alu instid0(VALU_DEP_3) | instskip(NEXT) | instid1(VALU_DEP_4)
	v_fma_f32 v2, -0.5, v2, v0
	v_fma_f32 v10, -0.5, v3, v1
	v_add_f32_e32 v11, v17, v9
	v_sub_f32_e32 v3, v16, v8
	v_fma_f32 v18, -0.5, v18, v12
	v_fmamk_f32 v14, v6, 0xbf5db3d7, v2
	v_fmamk_f32 v15, v7, 0x3f5db3d7, v10
	v_fmac_f32_e32 v2, 0x3f5db3d7, v6
	v_add_f32_e32 v6, v13, v17
	v_fma_f32 v11, -0.5, v11, v13
	v_fmac_f32_e32 v10, 0xbf5db3d7, v7
	v_mul_f32_e32 v7, -0.5, v15
	s_delay_alu instid0(VALU_DEP_4) | instskip(NEXT) | instid1(VALU_DEP_4)
	v_dual_mul_f32 v13, 0xbf5db3d7, v2 :: v_dual_add_f32 v6, v6, v9
	v_fmamk_f32 v19, v3, 0x3f5db3d7, v11
	v_fmac_f32_e32 v11, 0xbf5db3d7, v3
	s_delay_alu instid0(VALU_DEP_4) | instskip(SKIP_1) | instid1(VALU_DEP_1)
	v_dual_fmac_f32 v7, 0xbf5db3d7, v14 :: v_dual_add_f32 v0, v0, v4
	v_dual_mul_f32 v14, -0.5, v14 :: v_dual_add_f32 v5, v1, v5
	v_dual_fmac_f32 v14, 0x3f5db3d7, v15 :: v_dual_sub_f32 v9, v17, v9
	v_fmac_f32_e32 v13, 0.5, v10
	s_delay_alu instid0(VALU_DEP_3) | instskip(SKIP_2) | instid1(VALU_DEP_4)
	v_add_f32_e32 v17, v5, v29
	v_add_f32_e32 v5, v12, v16
	;; [unrolled: 1-line block ×3, first 2 shown]
	v_dual_fmamk_f32 v12, v9, 0xbf5db3d7, v18 :: v_dual_sub_f32 v3, v11, v13
	v_mul_f32_e32 v15, 0x3f5db3d7, v10
	s_delay_alu instid0(VALU_DEP_2) | instskip(SKIP_2) | instid1(VALU_DEP_1)
	v_sub_f32_e32 v0, v12, v14
	v_dual_fmac_f32 v18, 0x3f5db3d7, v9 :: v_dual_sub_f32 v1, v19, v7
	v_dual_add_f32 v10, v5, v8 :: v_dual_add_f32 v7, v19, v7
	v_sub_f32_e32 v4, v10, v16
	v_dual_add_f32 v10, v10, v16 :: v_dual_fmac_f32 v15, 0.5, v2
	v_add_f32_e32 v9, v11, v13
	v_add_f32_e32 v11, v6, v17
	v_lshl_add_u32 v13, v34, 3, v35
	v_dual_sub_f32 v5, v6, v17 :: v_dual_add_f32 v6, v12, v14
	v_add_f32_e32 v8, v18, v15
	v_sub_f32_e32 v2, v18, v15
	ds_store_2addr_b64 v13, v[10:11], v[8:9] offset0:72 offset1:73
	ds_store_2addr_b64 v13, v[6:7], v[4:5] offset0:74 offset1:75
	;; [unrolled: 1-line block ×3, first 2 shown]
.LBB0_18:
	s_wait_alu 0xfffe
	s_or_b32 exec_lo, exec_lo, s1
	v_dual_mov_b32 v1, v21 :: v_dual_add_nc_u32 v0, -6, v20
	v_cmp_gt_u32_e64 s0, 6, v20
	global_wb scope:SCOPE_SE
	s_wait_dscnt 0x0
	s_barrier_signal -1
	s_barrier_wait -1
	global_inv scope:SCOPE_SE
	s_wait_alu 0xf1ff
	v_cndmask_b32_e64 v19, v0, v20, s0
	s_delay_alu instid0(VALU_DEP_1) | instskip(NEXT) | instid1(VALU_DEP_1)
	v_mul_i32_i24_e32 v0, 9, v19
	v_lshlrev_b64_e32 v[0:1], 3, v[0:1]
	s_delay_alu instid0(VALU_DEP_1) | instskip(SKIP_1) | instid1(VALU_DEP_2)
	v_add_co_u32 v17, s0, s4, v0
	s_wait_alu 0xf1ff
	v_add_co_ci_u32_e64 v18, s0, s5, v1, s0
	v_mul_i32_i24_e32 v0, 0xffffffd8, v20
	s_clause 0x4
	global_load_b128 v[1:4], v[17:18], off
	global_load_b128 v[5:8], v[17:18], off offset:16
	global_load_b128 v[9:12], v[17:18], off offset:32
	;; [unrolled: 1-line block ×3, first 2 shown]
	global_load_b64 v[17:18], v[17:18], off offset:64
	v_cmp_lt_u32_e64 s0, 5, v20
	v_add3_u32 v0, v35, v0, v32
	ds_load_2addr_b64 v[34:37], v33 offset0:60 offset1:72
	ds_load_2addr_b64 v[38:41], v0 offset0:12 offset1:24
	;; [unrolled: 1-line block ×3, first 2 shown]
	s_wait_alu 0xf1ff
	v_cndmask_b32_e64 v21, 0, 0x1e0, s0
	v_add_co_u32 v28, s0, s4, v24
	s_wait_alu 0xf1ff
	v_add_co_ci_u32_e64 v29, s0, s5, v25, s0
	v_add_co_u32 v46, s0, s4, v26
	s_wait_alu 0xf1ff
	v_add_co_ci_u32_e64 v47, s0, s5, v27, s0
	ds_load_2addr_b64 v[24:27], v0 offset0:84 offset1:96
	ds_load_b64 v[48:49], v31
	ds_load_b64 v[50:51], v0 offset:864
	v_add_nc_u32_e32 v21, 0, v21
	v_lshlrev_b32_e32 v19, 3, v19
	global_wb scope:SCOPE_SE
	s_wait_loadcnt_dscnt 0x0
	s_barrier_signal -1
	s_barrier_wait -1
	global_inv scope:SCOPE_SE
	v_add3_u32 v19, v21, v19, v32
	v_mul_f32_e32 v21, v2, v39
	v_mul_f32_e32 v32, v2, v38
	;; [unrolled: 1-line block ×4, first 2 shown]
	v_dual_mul_f32 v52, v6, v43 :: v_dual_mul_f32 v53, v8, v45
	v_dual_mul_f32 v6, v6, v42 :: v_dual_mul_f32 v55, v37, v12
	v_fma_f32 v21, v1, v38, -v21
	v_fmac_f32_e32 v32, v1, v39
	v_fma_f32 v1, v3, v40, -v2
	v_fmac_f32_e32 v4, v3, v41
	v_fma_f32 v3, v7, v44, -v53
	v_mul_f32_e32 v8, v8, v44
	v_dual_mul_f32 v54, v10, v35 :: v_dual_mul_f32 v57, v27, v16
	v_fma_f32 v2, v5, v42, -v52
	v_mul_f32_e32 v10, v10, v34
	s_delay_alu instid0(VALU_DEP_4) | instskip(SKIP_1) | instid1(VALU_DEP_1)
	v_fmac_f32_e32 v8, v7, v45
	v_fma_f32 v7, v36, v11, -v55
	v_dual_mul_f32 v12, v36, v12 :: v_dual_sub_f32 v39, v3, v7
	s_delay_alu instid0(VALU_DEP_1) | instskip(SKIP_4) | instid1(VALU_DEP_3)
	v_fmac_f32_e32 v12, v37, v11
	v_fma_f32 v11, v26, v15, -v57
	v_mul_f32_e32 v16, v26, v16
	v_mul_f32_e32 v56, v25, v14
	;; [unrolled: 1-line block ×3, first 2 shown]
	v_dual_fmac_f32 v16, v27, v15 :: v_dual_add_f32 v15, v48, v1
	v_sub_f32_e32 v27, v11, v7
	s_delay_alu instid0(VALU_DEP_2)
	v_dual_sub_f32 v41, v16, v12 :: v_dual_fmac_f32 v10, v9, v35
	v_sub_f32_e32 v35, v3, v1
	v_fmac_f32_e32 v14, v25, v13
	v_dual_fmac_f32 v6, v5, v43 :: v_dual_sub_f32 v43, v12, v16
	v_dual_mul_f32 v58, v51, v18 :: v_dual_add_f32 v37, v49, v4
	v_mul_f32_e32 v18, v50, v18
	v_fma_f32 v5, v9, v34, -v54
	v_sub_f32_e32 v26, v1, v3
	s_delay_alu instid0(VALU_DEP_2) | instskip(NEXT) | instid1(VALU_DEP_1)
	v_dual_fmac_f32 v18, v51, v17 :: v_dual_sub_f32 v55, v5, v2
	v_sub_f32_e32 v61, v18, v14
	v_sub_f32_e32 v25, v8, v12
	v_fma_f32 v9, v24, v13, -v56
	v_fma_f32 v13, v50, v17, -v58
	v_add_f32_e32 v17, v3, v7
	v_sub_f32_e32 v36, v7, v11
	v_add_f32_e32 v3, v15, v3
	v_sub_f32_e32 v59, v5, v9
	v_add_f32_e32 v45, v5, v9
	v_add_f32_e32 v54, v2, v13
	;; [unrolled: 1-line block ×3, first 2 shown]
	v_sub_f32_e32 v56, v9, v13
	v_add_f32_e32 v44, v21, v2
	v_dual_sub_f32 v24, v4, v16 :: v_dual_sub_f32 v53, v13, v9
	v_dual_sub_f32 v40, v4, v8 :: v_dual_add_f32 v3, v3, v7
	v_add_f32_e32 v42, v4, v16
	v_add_f32_e32 v34, v1, v11
	v_sub_f32_e32 v1, v1, v11
	v_sub_f32_e32 v51, v10, v14
	v_fma_f32 v64, -0.5, v17, v48
	v_sub_f32_e32 v52, v2, v5
	v_dual_add_f32 v15, v26, v27 :: v_dual_add_f32 v26, v35, v36
	v_fma_f32 v35, -0.5, v45, v21
	v_fmac_f32_e32 v21, -0.5, v54
	v_fma_f32 v27, -0.5, v38, v49
	v_sub_f32_e32 v4, v8, v4
	v_dual_add_f32 v8, v37, v8 :: v_dual_add_f32 v3, v3, v11
	v_dual_add_f32 v37, v55, v56 :: v_dual_sub_f32 v50, v6, v18
	v_add_f32_e32 v5, v44, v5
	v_add_f32_e32 v57, v32, v6
	v_sub_f32_e32 v60, v6, v10
	v_add_f32_e32 v62, v6, v18
	v_sub_f32_e32 v6, v10, v6
	v_sub_f32_e32 v63, v14, v18
	v_fmac_f32_e32 v49, -0.5, v42
	v_fma_f32 v17, -0.5, v34, v48
	v_dual_add_f32 v5, v5, v9 :: v_dual_add_f32 v58, v10, v14
	v_fmamk_f32 v9, v51, 0xbf737871, v21
	s_delay_alu instid0(VALU_DEP_4)
	v_fmamk_f32 v44, v39, 0x3f737871, v49
	v_fmac_f32_e32 v49, 0xbf737871, v39
	v_fmac_f32_e32 v21, 0x3f737871, v51
	v_dual_add_f32 v6, v6, v63 :: v_dual_add_f32 v5, v5, v13
	v_fmamk_f32 v42, v25, 0xbf737871, v17
	v_fmac_f32_e32 v17, 0x3f737871, v25
	v_add_f32_e32 v34, v40, v41
	v_fmamk_f32 v41, v24, 0x3f737871, v64
	v_fmac_f32_e32 v64, 0xbf737871, v24
	v_add_f32_e32 v7, v8, v12
	v_dual_add_f32 v4, v4, v43 :: v_dual_fmamk_f32 v43, v1, 0xbf737871, v27
	v_dual_fmac_f32 v27, 0x3f737871, v1 :: v_dual_add_f32 v10, v57, v10
	v_fma_f32 v38, -0.5, v58, v32
	v_dual_fmac_f32 v32, -0.5, v62 :: v_dual_fmac_f32 v49, 0x3f167918, v1
	v_dual_fmac_f32 v17, 0xbf167918, v24 :: v_dual_fmac_f32 v44, 0xbf167918, v1
	v_add_f32_e32 v1, v3, v5
	v_dual_fmac_f32 v64, 0xbf167918, v25 :: v_dual_fmac_f32 v21, 0xbf167918, v50
	v_sub_f32_e32 v2, v2, v13
	v_fmac_f32_e32 v41, 0x3f167918, v25
	v_dual_fmac_f32 v27, 0x3f167918, v39 :: v_dual_add_f32 v10, v10, v14
	s_delay_alu instid0(VALU_DEP_4) | instskip(SKIP_1) | instid1(VALU_DEP_4)
	v_dual_fmac_f32 v64, 0x3e9e377a, v15 :: v_dual_fmac_f32 v17, 0x3e9e377a, v26
	v_fmamk_f32 v14, v59, 0x3f737871, v32
	v_fmac_f32_e32 v41, 0x3e9e377a, v15
	v_fmamk_f32 v8, v50, 0x3f737871, v35
	v_dual_fmac_f32 v35, 0xbf737871, v50 :: v_dual_fmac_f32 v32, 0xbf737871, v59
	s_delay_alu instid0(VALU_DEP_4) | instskip(SKIP_1) | instid1(VALU_DEP_3)
	v_fmac_f32_e32 v14, 0xbf167918, v2
	v_dual_add_f32 v40, v60, v61 :: v_dual_fmac_f32 v9, 0x3f167918, v50
	v_fmac_f32_e32 v35, 0xbf167918, v51
	s_delay_alu instid0(VALU_DEP_4) | instskip(NEXT) | instid1(VALU_DEP_4)
	v_fmac_f32_e32 v32, 0x3f167918, v2
	v_dual_fmac_f32 v21, 0x3e9e377a, v37 :: v_dual_fmac_f32 v14, 0x3e9e377a, v6
	v_dual_sub_f32 v3, v3, v5 :: v_dual_fmac_f32 v42, 0x3f167918, v24
	v_fmac_f32_e32 v9, 0x3e9e377a, v37
	s_delay_alu instid0(VALU_DEP_3) | instskip(NEXT) | instid1(VALU_DEP_4)
	v_mul_f32_e32 v5, 0x3e9e377a, v21
	v_mul_f32_e32 v15, 0x3f737871, v14
	v_dual_fmac_f32 v32, 0x3e9e377a, v6 :: v_dual_add_f32 v7, v7, v16
	v_dual_add_f32 v10, v10, v18 :: v_dual_fmac_f32 v49, 0x3e9e377a, v4
	s_delay_alu instid0(VALU_DEP_3) | instskip(NEXT) | instid1(VALU_DEP_3)
	v_fmac_f32_e32 v15, 0x3e9e377a, v9
	v_fma_f32 v24, 0x3f737871, v32, -v5
	v_fmamk_f32 v12, v2, 0xbf737871, v38
	v_mul_f32_e32 v18, 0xbf737871, v9
	v_dual_add_f32 v36, v52, v53 :: v_dual_fmac_f32 v43, 0xbf167918, v39
	s_delay_alu instid0(VALU_DEP_3) | instskip(SKIP_1) | instid1(VALU_DEP_3)
	v_dual_add_f32 v9, v17, v24 :: v_dual_fmac_f32 v12, 0xbf167918, v59
	v_dual_sub_f32 v17, v17, v24 :: v_dual_fmac_f32 v42, 0x3e9e377a, v26
	v_fmac_f32_e32 v35, 0x3e9e377a, v36
	v_fmac_f32_e32 v38, 0x3f737871, v2
	s_delay_alu instid0(VALU_DEP_4) | instskip(SKIP_2) | instid1(VALU_DEP_3)
	v_fmac_f32_e32 v12, 0x3e9e377a, v40
	v_fmac_f32_e32 v8, 0x3f167918, v51
	v_dual_fmac_f32 v43, 0x3e9e377a, v34 :: v_dual_fmac_f32 v44, 0x3e9e377a, v4
	v_dual_add_f32 v2, v7, v10 :: v_dual_mul_f32 v13, 0x3f167918, v12
	s_delay_alu instid0(VALU_DEP_3) | instskip(SKIP_3) | instid1(VALU_DEP_4)
	v_dual_fmac_f32 v27, 0x3e9e377a, v34 :: v_dual_fmac_f32 v8, 0x3e9e377a, v36
	v_dual_sub_f32 v4, v7, v10 :: v_dual_mul_f32 v7, 0x3e9e377a, v32
	v_mul_f32_e32 v6, 0x3f4f1bbd, v35
	v_fmac_f32_e32 v18, 0x3e9e377a, v14
	v_mul_f32_e32 v16, 0xbf167918, v8
	v_fmac_f32_e32 v13, 0x3f4f1bbd, v8
	v_fma_f32 v21, 0xbf737871, v21, -v7
	v_add_f32_e32 v7, v42, v15
	v_fmac_f32_e32 v38, 0x3f167918, v59
	s_delay_alu instid0(VALU_DEP_4) | instskip(SKIP_1) | instid1(VALU_DEP_3)
	v_dual_fmac_f32 v16, 0x3f4f1bbd, v12 :: v_dual_add_f32 v5, v41, v13
	v_dual_add_f32 v8, v44, v18 :: v_dual_sub_f32 v13, v41, v13
	v_dual_fmac_f32 v38, 0x3e9e377a, v40 :: v_dual_sub_f32 v15, v42, v15
	s_delay_alu instid0(VALU_DEP_3) | instskip(NEXT) | instid1(VALU_DEP_2)
	v_sub_f32_e32 v14, v43, v16
	v_mul_f32_e32 v10, 0x3f4f1bbd, v38
	v_fma_f32 v25, 0x3f167918, v38, -v6
	v_add_f32_e32 v6, v43, v16
	v_sub_f32_e32 v16, v44, v18
	v_sub_f32_e32 v18, v49, v21
	v_fma_f32 v26, 0xbf167918, v35, -v10
	v_add_f32_e32 v10, v49, v21
	v_add_f32_e32 v11, v64, v25
	v_sub_f32_e32 v24, v64, v25
	s_delay_alu instid0(VALU_DEP_4)
	v_add_f32_e32 v12, v27, v26
	v_sub_f32_e32 v25, v27, v26
	ds_store_2addr_b64 v19, v[1:2], v[5:6] offset1:6
	ds_store_2addr_b64 v19, v[7:8], v[9:10] offset0:12 offset1:18
	ds_store_2addr_b64 v19, v[11:12], v[3:4] offset0:24 offset1:30
	ds_store_2addr_b64 v19, v[13:14], v[15:16] offset0:36 offset1:42
	ds_store_2addr_b64 v19, v[17:18], v[24:25] offset0:48 offset1:54
	global_wb scope:SCOPE_SE
	s_wait_dscnt 0x0
	s_barrier_signal -1
	s_barrier_wait -1
	global_inv scope:SCOPE_SE
	s_clause 0x4
	global_load_b64 v[17:18], v[28:29], off offset:432
	global_load_b64 v[24:25], v[46:47], off offset:528
	;; [unrolled: 1-line block ×5, first 2 shown]
	ds_load_2addr_b64 v[1:4], v33 offset0:60 offset1:72
	ds_load_2addr_b64 v[5:8], v0 offset0:84 offset1:96
	ds_load_b64 v[36:37], v0 offset:864
	ds_load_b64 v[31:32], v31
	ds_load_2addr_b64 v[9:12], v0 offset0:12 offset1:24
	ds_load_2addr_b64 v[13:16], v0 offset0:36 offset1:48
	global_wb scope:SCOPE_SE
	s_wait_loadcnt_dscnt 0x0
	s_barrier_signal -1
	s_barrier_wait -1
	global_inv scope:SCOPE_SE
	v_mul_f32_e32 v19, v18, v2
	v_dual_mul_f32 v18, v18, v1 :: v_dual_mul_f32 v21, v25, v4
	v_mul_f32_e32 v25, v25, v3
	v_mul_f32_e32 v39, v29, v8
	;; [unrolled: 1-line block ×3, first 2 shown]
	s_delay_alu instid0(VALU_DEP_4) | instskip(NEXT) | instid1(VALU_DEP_4)
	v_fmac_f32_e32 v18, v17, v2
	v_dual_mul_f32 v40, v35, v37 :: v_dual_fmac_f32 v25, v24, v4
	v_mul_f32_e32 v35, v35, v36
	s_delay_alu instid0(VALU_DEP_4)
	v_dual_fmac_f32 v29, v28, v8 :: v_dual_mul_f32 v38, v27, v6
	v_mul_f32_e32 v27, v27, v5
	v_fma_f32 v1, v17, v1, -v19
	v_fma_f32 v3, v24, v3, -v21
	v_sub_f32_e32 v2, v32, v18
	v_sub_f32_e32 v18, v10, v25
	;; [unrolled: 1-line block ×3, first 2 shown]
	v_fma_f32 v4, v26, v5, -v38
	v_fmac_f32_e32 v27, v26, v6
	v_fma_f32 v5, v28, v7, -v39
	v_fma_f32 v6, v34, v36, -v40
	v_fmac_f32_e32 v35, v34, v37
	v_sub_f32_e32 v1, v31, v1
	v_sub_f32_e32 v17, v9, v3
	;; [unrolled: 1-line block ×3, first 2 shown]
	v_dual_sub_f32 v21, v12, v27 :: v_dual_sub_f32 v24, v13, v5
	v_dual_sub_f32 v26, v15, v6 :: v_dual_sub_f32 v27, v16, v35
	v_fma_f32 v3, v31, 2.0, -v1
	v_fma_f32 v4, v32, 2.0, -v2
	;; [unrolled: 1-line block ×10, first 2 shown]
	ds_store_2addr_b64 v33, v[3:4], v[1:2] offset1:60
	ds_store_2addr_b32 v0, v17, v18 offset0:144 offset1:145
	ds_store_2addr_b64 v0, v[5:6], v[7:8] offset0:12 offset1:24
	ds_store_2addr_b32 v0, v19, v21 offset0:168 offset1:169
	ds_store_2addr_b32 v0, v24, v25 offset0:192 offset1:193
	ds_store_2addr_b64 v0, v[9:10], v[11:12] offset0:36 offset1:48
	ds_store_2addr_b32 v0, v26, v27 offset0:216 offset1:217
	global_wb scope:SCOPE_SE
	s_wait_dscnt 0x0
	s_barrier_signal -1
	s_barrier_wait -1
	global_inv scope:SCOPE_SE
	s_and_saveexec_b32 s0, vcc_lo
	s_cbranch_execz .LBB0_20
; %bb.19:
	v_dual_mov_b32 v21, 0 :: v_dual_add_nc_u32 v6, 12, v20
	v_lshl_add_u32 v24, v20, 3, v30
	v_add_co_u32 v25, vcc_lo, s8, v22
	s_delay_alu instid0(VALU_DEP_3)
	v_lshlrev_b64_e32 v[4:5], 3, v[20:21]
	s_wait_alu 0xfffd
	v_add_co_ci_u32_e32 v26, vcc_lo, s9, v23, vcc_lo
	v_dual_mov_b32 v7, v21 :: v_dual_add_nc_u32 v8, 24, v20
	ds_load_2addr_b64 v[0:3], v24 offset1:12
	v_add_co_u32 v10, vcc_lo, v25, v4
	v_dual_mov_b32 v9, v21 :: v_dual_add_nc_u32 v14, 36, v20
	s_wait_alu 0xfffd
	v_add_co_ci_u32_e32 v11, vcc_lo, v26, v5, vcc_lo
	v_lshlrev_b64_e32 v[12:13], 3, v[6:7]
	ds_load_2addr_b64 v[4:7], v24 offset0:24 offset1:36
	v_dual_mov_b32 v15, v21 :: v_dual_add_nc_u32 v16, 48, v20
	v_lshlrev_b64_e32 v[8:9], 3, v[8:9]
	v_mov_b32_e32 v17, v21
	v_add_co_u32 v12, vcc_lo, v25, v12
	s_delay_alu instid0(VALU_DEP_4)
	v_lshlrev_b64_e32 v[14:15], 3, v[14:15]
	s_wait_alu 0xfffd
	v_add_co_ci_u32_e32 v13, vcc_lo, v26, v13, vcc_lo
	v_add_co_u32 v8, vcc_lo, v25, v8
	s_wait_alu 0xfffd
	v_add_co_ci_u32_e32 v9, vcc_lo, v26, v9, vcc_lo
	v_add_co_u32 v14, vcc_lo, v25, v14
	s_wait_alu 0xfffd
	v_add_co_ci_u32_e32 v15, vcc_lo, v26, v15, vcc_lo
	s_wait_dscnt 0x1
	s_clause 0x1
	global_store_b64 v[10:11], v[0:1], off
	global_store_b64 v[12:13], v[2:3], off
	s_wait_dscnt 0x0
	s_clause 0x1
	global_store_b64 v[8:9], v[4:5], off
	global_store_b64 v[14:15], v[6:7], off
	v_dual_mov_b32 v5, v21 :: v_dual_add_nc_u32 v4, 60, v20
	v_add_nc_u32_e32 v6, 0x48, v20
	v_lshlrev_b64_e32 v[16:17], 3, v[16:17]
	v_dual_mov_b32 v7, v21 :: v_dual_add_nc_u32 v8, 0x54, v20
	s_delay_alu instid0(VALU_DEP_4) | instskip(SKIP_1) | instid1(VALU_DEP_4)
	v_lshlrev_b64_e32 v[4:5], 3, v[4:5]
	v_dual_mov_b32 v9, v21 :: v_dual_add_nc_u32 v18, 0x60, v20
	v_add_co_u32 v12, vcc_lo, v25, v16
	s_delay_alu instid0(VALU_DEP_4)
	v_lshlrev_b64_e32 v[10:11], 3, v[6:7]
	s_wait_alu 0xfffd
	v_add_co_ci_u32_e32 v13, vcc_lo, v26, v17, vcc_lo
	v_add_co_u32 v14, vcc_lo, v25, v4
	ds_load_2addr_b64 v[0:3], v24 offset0:48 offset1:60
	s_wait_alu 0xfffd
	v_add_co_ci_u32_e32 v15, vcc_lo, v26, v5, vcc_lo
	ds_load_2addr_b64 v[4:7], v24 offset0:72 offset1:84
	v_add_co_u32 v22, vcc_lo, v25, v10
	v_lshlrev_b64_e32 v[16:17], 3, v[8:9]
	v_dual_mov_b32 v19, v21 :: v_dual_add_nc_u32 v20, 0x6c, v20
	s_wait_alu 0xfffd
	v_add_co_ci_u32_e32 v23, vcc_lo, v26, v11, vcc_lo
	ds_load_2addr_b64 v[8:11], v24 offset0:96 offset1:108
	v_lshlrev_b64_e32 v[18:19], 3, v[18:19]
	v_add_co_u32 v16, vcc_lo, v25, v16
	v_lshlrev_b64_e32 v[20:21], 3, v[20:21]
	s_wait_alu 0xfffd
	v_add_co_ci_u32_e32 v17, vcc_lo, v26, v17, vcc_lo
	s_delay_alu instid0(VALU_DEP_4)
	v_add_co_u32 v18, vcc_lo, v25, v18
	s_wait_alu 0xfffd
	v_add_co_ci_u32_e32 v19, vcc_lo, v26, v19, vcc_lo
	v_add_co_u32 v20, vcc_lo, v25, v20
	s_wait_alu 0xfffd
	v_add_co_ci_u32_e32 v21, vcc_lo, v26, v21, vcc_lo
	s_wait_dscnt 0x2
	s_clause 0x1
	global_store_b64 v[12:13], v[0:1], off
	global_store_b64 v[14:15], v[2:3], off
	s_wait_dscnt 0x1
	s_clause 0x1
	global_store_b64 v[22:23], v[4:5], off
	global_store_b64 v[16:17], v[6:7], off
	s_wait_dscnt 0x0
	s_clause 0x1
	global_store_b64 v[18:19], v[8:9], off
	global_store_b64 v[20:21], v[10:11], off
.LBB0_20:
	s_nop 0
	s_sendmsg sendmsg(MSG_DEALLOC_VGPRS)
	s_endpgm
	.section	.rodata,"a",@progbits
	.p2align	6, 0x0
	.amdhsa_kernel fft_rtc_fwd_len120_factors_6_10_2_wgs_60_tpt_12_halfLds_sp_ip_CI_unitstride_sbrr_C2R_dirReg
		.amdhsa_group_segment_fixed_size 0
		.amdhsa_private_segment_fixed_size 0
		.amdhsa_kernarg_size 88
		.amdhsa_user_sgpr_count 2
		.amdhsa_user_sgpr_dispatch_ptr 0
		.amdhsa_user_sgpr_queue_ptr 0
		.amdhsa_user_sgpr_kernarg_segment_ptr 1
		.amdhsa_user_sgpr_dispatch_id 0
		.amdhsa_user_sgpr_private_segment_size 0
		.amdhsa_wavefront_size32 1
		.amdhsa_uses_dynamic_stack 0
		.amdhsa_enable_private_segment 0
		.amdhsa_system_sgpr_workgroup_id_x 1
		.amdhsa_system_sgpr_workgroup_id_y 0
		.amdhsa_system_sgpr_workgroup_id_z 0
		.amdhsa_system_sgpr_workgroup_info 0
		.amdhsa_system_vgpr_workitem_id 0
		.amdhsa_next_free_vgpr 65
		.amdhsa_next_free_sgpr 32
		.amdhsa_reserve_vcc 1
		.amdhsa_float_round_mode_32 0
		.amdhsa_float_round_mode_16_64 0
		.amdhsa_float_denorm_mode_32 3
		.amdhsa_float_denorm_mode_16_64 3
		.amdhsa_fp16_overflow 0
		.amdhsa_workgroup_processor_mode 1
		.amdhsa_memory_ordered 1
		.amdhsa_forward_progress 0
		.amdhsa_round_robin_scheduling 0
		.amdhsa_exception_fp_ieee_invalid_op 0
		.amdhsa_exception_fp_denorm_src 0
		.amdhsa_exception_fp_ieee_div_zero 0
		.amdhsa_exception_fp_ieee_overflow 0
		.amdhsa_exception_fp_ieee_underflow 0
		.amdhsa_exception_fp_ieee_inexact 0
		.amdhsa_exception_int_div_zero 0
	.end_amdhsa_kernel
	.text
.Lfunc_end0:
	.size	fft_rtc_fwd_len120_factors_6_10_2_wgs_60_tpt_12_halfLds_sp_ip_CI_unitstride_sbrr_C2R_dirReg, .Lfunc_end0-fft_rtc_fwd_len120_factors_6_10_2_wgs_60_tpt_12_halfLds_sp_ip_CI_unitstride_sbrr_C2R_dirReg
                                        ; -- End function
	.section	.AMDGPU.csdata,"",@progbits
; Kernel info:
; codeLenInByte = 5916
; NumSgprs: 34
; NumVgprs: 65
; ScratchSize: 0
; MemoryBound: 0
; FloatMode: 240
; IeeeMode: 1
; LDSByteSize: 0 bytes/workgroup (compile time only)
; SGPRBlocks: 4
; VGPRBlocks: 8
; NumSGPRsForWavesPerEU: 34
; NumVGPRsForWavesPerEU: 65
; Occupancy: 16
; WaveLimiterHint : 1
; COMPUTE_PGM_RSRC2:SCRATCH_EN: 0
; COMPUTE_PGM_RSRC2:USER_SGPR: 2
; COMPUTE_PGM_RSRC2:TRAP_HANDLER: 0
; COMPUTE_PGM_RSRC2:TGID_X_EN: 1
; COMPUTE_PGM_RSRC2:TGID_Y_EN: 0
; COMPUTE_PGM_RSRC2:TGID_Z_EN: 0
; COMPUTE_PGM_RSRC2:TIDIG_COMP_CNT: 0
	.text
	.p2alignl 7, 3214868480
	.fill 96, 4, 3214868480
	.type	__hip_cuid_9edb0e7780545080,@object ; @__hip_cuid_9edb0e7780545080
	.section	.bss,"aw",@nobits
	.globl	__hip_cuid_9edb0e7780545080
__hip_cuid_9edb0e7780545080:
	.byte	0                               ; 0x0
	.size	__hip_cuid_9edb0e7780545080, 1

	.ident	"AMD clang version 19.0.0git (https://github.com/RadeonOpenCompute/llvm-project roc-6.4.0 25133 c7fe45cf4b819c5991fe208aaa96edf142730f1d)"
	.section	".note.GNU-stack","",@progbits
	.addrsig
	.addrsig_sym __hip_cuid_9edb0e7780545080
	.amdgpu_metadata
---
amdhsa.kernels:
  - .args:
      - .actual_access:  read_only
        .address_space:  global
        .offset:         0
        .size:           8
        .value_kind:     global_buffer
      - .offset:         8
        .size:           8
        .value_kind:     by_value
      - .actual_access:  read_only
        .address_space:  global
        .offset:         16
        .size:           8
        .value_kind:     global_buffer
      - .actual_access:  read_only
        .address_space:  global
        .offset:         24
        .size:           8
        .value_kind:     global_buffer
      - .offset:         32
        .size:           8
        .value_kind:     by_value
      - .actual_access:  read_only
        .address_space:  global
        .offset:         40
        .size:           8
        .value_kind:     global_buffer
      - .actual_access:  read_only
        .address_space:  global
        .offset:         48
        .size:           8
        .value_kind:     global_buffer
      - .offset:         56
        .size:           4
        .value_kind:     by_value
      - .actual_access:  read_only
        .address_space:  global
        .offset:         64
        .size:           8
        .value_kind:     global_buffer
      - .actual_access:  read_only
        .address_space:  global
        .offset:         72
        .size:           8
        .value_kind:     global_buffer
      - .address_space:  global
        .offset:         80
        .size:           8
        .value_kind:     global_buffer
    .group_segment_fixed_size: 0
    .kernarg_segment_align: 8
    .kernarg_segment_size: 88
    .language:       OpenCL C
    .language_version:
      - 2
      - 0
    .max_flat_workgroup_size: 60
    .name:           fft_rtc_fwd_len120_factors_6_10_2_wgs_60_tpt_12_halfLds_sp_ip_CI_unitstride_sbrr_C2R_dirReg
    .private_segment_fixed_size: 0
    .sgpr_count:     34
    .sgpr_spill_count: 0
    .symbol:         fft_rtc_fwd_len120_factors_6_10_2_wgs_60_tpt_12_halfLds_sp_ip_CI_unitstride_sbrr_C2R_dirReg.kd
    .uniform_work_group_size: 1
    .uses_dynamic_stack: false
    .vgpr_count:     65
    .vgpr_spill_count: 0
    .wavefront_size: 32
    .workgroup_processor_mode: 1
amdhsa.target:   amdgcn-amd-amdhsa--gfx1201
amdhsa.version:
  - 1
  - 2
...

	.end_amdgpu_metadata
